;; amdgpu-corpus repo=llvm/llvm-project kind=harvested arch=n/a opt=n/a
// NOTE: Assertions have been autogenerated by utils/update_mc_test_checks.py UTC_ARGS: --version 6
; RUN: not llvm-mc -triple=amdgcn -mcpu=gfx1250 -filetype=null %s 2>&1 | FileCheck --check-prefix=GFX1250-ERR --implicit-check-not=error: --strict-whitespace %s

tensor_load_to_lds s[0:3], s[4:11] r128
// GFX1250-ERR: :[[@LINE-1]]:1: error: instruction must set modifier r128=0

tensor_load_to_lds s[0:3], s[4:11] th:TH_STORE_BYPASS scope:SCOPE_SYS
// GFX1250-ERR: :[[@LINE-1]]:36: error: invalid th value for load instructions

tensor_load_to_lds s[0:3], s[4:11], s[12:15], s[16:19] r128
// GFX1250-ERR: :[[@LINE-1]]:1: error: instruction must set modifier r128=0

tensor_load_to_lds s[0:3], s[4:11], s[12:15], s[16:19] th:TH_STORE_NT_HT scope:SCOPE_DEV
// GFX1250-ERR: :[[@LINE-1]]:56: error: invalid th value for load instructions

tensor_store_from_lds s[0:3], s[4:11] r128
// GFX1250-ERR: :[[@LINE-1]]:1: error: instruction must set modifier r128=0

tensor_store_from_lds s[0:3], s[4:11] th:TH_LOAD_BYPASS scope:SCOPE_SYS
// GFX1250-ERR: :[[@LINE-1]]:39: error: invalid th value for store instructions

tensor_store_from_lds s[0:3], s[4:11], s[12:15], s[16:19] r128
// GFX1250-ERR: :[[@LINE-1]]:1: error: instruction must set modifier r128=0

tensor_store_from_lds s[0:3], s[4:11], s[12:15], s[16:19] th:TH_LOAD_NT_HT scope:SCOPE_DEV
// GFX1250-ERR: :[[@LINE-1]]:59: error: invalid th value for store instructions

tensor_load_to_lds null, s[4:11]
// GFX1250-ERR: :[[@LINE-1]]:20: error: invalid operand for instruction

tensor_load_to_lds s[0:3], null
// GFX1250-ERR: :[[@LINE-1]]:28: error: invalid operand for instruction

tensor_load_to_lds null, s[4:11], s[12:15], s[16:19]
// GFX1250-ERR: :[[@LINE-1]]:20: error: invalid operand for instruction

tensor_load_to_lds s[0:3], null, s[12:15], s[16:19]
// GFX1250-ERR: :[[@LINE-1]]:28: error: invalid operand for instruction

tensor_store_from_lds null, s[4:11]
// GFX1250-ERR: :[[@LINE-1]]:23: error: invalid operand for instruction

tensor_store_from_lds s[0:3], null
// GFX1250-ERR: :[[@LINE-1]]:31: error: invalid operand for instruction

tensor_store_from_lds null, s[4:11], s[12:15], s[16:19]
// GFX1250-ERR: :[[@LINE-1]]:23: error: invalid operand for instruction

tensor_store_from_lds s[0:3], null, s[12:15], s[16:19]
// GFX1250-ERR: :[[@LINE-1]]:31: error: invalid operand for instruction

tensor_load_to_lds s[14:17], s[4:11]
// GFX1250-ERR: :[[@LINE-1]]:20: error: invalid register alignment

tensor_load_to_lds s[0:3], s[6:13]
// GFX1250-ERR: :[[@LINE-1]]:28: error: invalid register alignment

tensor_load_to_lds s[58:61], s[4:11], s[12:15], s[16:19]
// GFX1250-ERR: :[[@LINE-1]]:20: error: invalid register alignment

tensor_load_to_lds s[0:3], s[22:29], s[12:15], s[16:19]
	;; [unrolled: 3-line block ×4, first 2 shown]
// GFX1250-ERR: :[[@LINE-1]]:47: error: invalid register alignment

tensor_store_from_lds s[14:17], s[4:11]
// GFX1250-ERR: :[[@LINE-1]]:23: error: invalid register alignment

tensor_store_from_lds s[0:3], s[6:13]
// GFX1250-ERR: :[[@LINE-1]]:31: error: invalid register alignment

tensor_store_from_lds s[58:61], s[4:11], s[12:15], s[16:19]
// GFX1250-ERR: :[[@LINE-1]]:23: error: invalid register alignment

tensor_store_from_lds s[0:3], s[22:29], s[12:15], s[16:19]
	;; [unrolled: 3-line block ×4, first 2 shown]
// GFX1250-ERR: :[[@LINE-1]]:50: error: invalid register alignment
